;; amdgpu-corpus repo=ROCm/rocm-examples kind=compiled arch=gfx1250 opt=O3
	.amdgcn_target "amdgcn-amd-amdhsa--gfx1250"
	.amdhsa_code_object_version 6
	.section	.text._Z20vector_reduce_kernelILj16EEvPKjPjS2_,"axG",@progbits,_Z20vector_reduce_kernelILj16EEvPKjPjS2_,comdat
	.protected	_Z20vector_reduce_kernelILj16EEvPKjPjS2_ ; -- Begin function _Z20vector_reduce_kernelILj16EEvPKjPjS2_
	.globl	_Z20vector_reduce_kernelILj16EEvPKjPjS2_
	.p2align	8
	.type	_Z20vector_reduce_kernelILj16EEvPKjPjS2_,@function
_Z20vector_reduce_kernelILj16EEvPKjPjS2_: ; @_Z20vector_reduce_kernelILj16EEvPKjPjS2_
; %bb.0:
	s_clause 0x1
	s_load_b64 s[2:3], s[0:1], 0x24
	s_load_b128 s[4:7], s[0:1], 0x0
	v_bfe_u32 v1, v0, 10, 10
	v_bfe_u32 v2, v0, 20, 10
	v_and_b32_e32 v0, 0x3ff, v0
	s_wait_xcnt 0x0
	s_load_b64 s[0:1], s[0:1], 0x10
	s_wait_kmcnt 0x0
	s_lshr_b32 s8, s2, 16
	s_and_b32 s2, s2, 0xffff
	v_mad_u32_u24 v1, v2, s8, v1
	s_and_b32 s3, s3, 0xffff
	s_delay_alu instid0(VALU_DEP_1) | instskip(SKIP_1) | instid1(SALU_CYCLE_1)
	v_mad_u32 v0, v1, s2, v0
	s_mul_i32 s2, s8, s2
	s_mul_i32 s2, s2, s3
	s_delay_alu instid0(SALU_CYCLE_1)
	s_cmp_lt_u32 s2, 2
	global_load_b32 v1, v0, s[4:5] scale_offset
	s_wait_loadcnt 0x0
	v_dual_mov_b32 v3, v1 :: v_dual_lshlrev_b32 v2, 2, v0
	s_cbranch_scc1 .LBB0_6
; %bb.1:
	v_mov_b32_e32 v3, v1
.LBB0_2:                                ; =>This Inner Loop Header: Depth=1
	s_lshr_b32 s3, s2, 1
	s_mov_b32 s4, exec_lo
	ds_store_b32 v2, v3
	s_wait_dscnt 0x0
	s_barrier_signal -1
	s_barrier_wait -1
	v_cmpx_gt_u32_e64 s3, v0
	s_cbranch_execz .LBB0_4
; %bb.3:                                ;   in Loop: Header=BB0_2 Depth=1
	v_lshl_add_u32 v4, s3, 2, v2
	ds_load_b32 v4, v4
	s_wait_dscnt 0x0
	v_add_nc_u32_e32 v3, v4, v3
.LBB0_4:                                ;   in Loop: Header=BB0_2 Depth=1
	s_or_b32 exec_lo, exec_lo, s4
	s_cmp_gt_u32 s2, 3
	s_barrier_signal -1
	s_barrier_wait -1
	s_cbranch_scc0 .LBB0_6
; %bb.5:                                ;   in Loop: Header=BB0_2 Depth=1
	s_mov_b32 s2, s3
	s_branch .LBB0_2
.LBB0_6:
	s_mov_b32 s2, exec_lo
	v_cmpx_eq_u32_e32 0, v0
	s_cbranch_execz .LBB0_8
; %bb.7:
	v_mov_b32_e32 v4, 0
	global_store_b32 v4, v3, s[6:7]
.LBB0_8:
	s_wait_xcnt 0x0
	s_or_b32 exec_lo, exec_lo, s2
	v_and_b32_e32 v3, 15, v0
	s_mov_b32 s2, exec_lo
	ds_store_b32 v2, v1
	global_wb scope:SCOPE_DEV
	s_wait_storecnt_dscnt 0x0
	global_inv scope:SCOPE_DEV
	v_cmpx_gt_u32_e32 8, v3
	s_cbranch_execz .LBB0_10
; %bb.9:
	ds_load_b32 v4, v2 offset:32
	s_wait_dscnt 0x0
	v_add_nc_u32_e32 v1, v4, v1
.LBB0_10:
	s_or_b32 exec_lo, exec_lo, s2
	s_delay_alu instid0(SALU_CYCLE_1)
	s_mov_b32 s2, exec_lo
	global_wb scope:SCOPE_DEV
	s_wait_loadcnt 0x0
	s_wait_storecnt 0x0
	global_inv scope:SCOPE_DEV
	ds_store_b32 v2, v1
	global_wb scope:SCOPE_DEV
	s_wait_storecnt 0x0
	s_wait_loadcnt_dscnt 0x0
	global_inv scope:SCOPE_DEV
	v_cmpx_gt_u32_e32 4, v3
	s_cbranch_execz .LBB0_12
; %bb.11:
	ds_load_b32 v4, v2 offset:16
	s_wait_dscnt 0x0
	v_add_nc_u32_e32 v1, v4, v1
.LBB0_12:
	s_or_b32 exec_lo, exec_lo, s2
	s_delay_alu instid0(SALU_CYCLE_1)
	s_mov_b32 s2, exec_lo
	global_wb scope:SCOPE_DEV
	s_wait_loadcnt 0x0
	s_wait_storecnt 0x0
	global_inv scope:SCOPE_DEV
	ds_store_b32 v2, v1
	global_wb scope:SCOPE_DEV
	s_wait_storecnt 0x0
	s_wait_loadcnt_dscnt 0x0
	global_inv scope:SCOPE_DEV
	v_cmpx_gt_u32_e32 2, v3
	s_cbranch_execz .LBB0_14
; %bb.13:
	ds_load_b32 v4, v2 offset:8
	s_wait_dscnt 0x0
	v_add_nc_u32_e32 v1, v4, v1
.LBB0_14:
	s_or_b32 exec_lo, exec_lo, s2
	v_cmp_eq_u32_e32 vcc_lo, 0, v3
	global_wb scope:SCOPE_DEV
	s_wait_loadcnt 0x0
	s_wait_storecnt 0x0
	global_inv scope:SCOPE_DEV
	ds_store_b32 v2, v1
	global_wb scope:SCOPE_DEV
	s_wait_storecnt 0x0
	s_wait_loadcnt_dscnt 0x0
	global_inv scope:SCOPE_DEV
	s_and_saveexec_b32 s2, vcc_lo
	s_cbranch_execnz .LBB0_17
; %bb.15:
	s_or_b32 exec_lo, exec_lo, s2
	global_wb scope:SCOPE_DEV
	s_wait_loadcnt 0x0
	s_wait_storecnt 0x0
	global_inv scope:SCOPE_DEV
	s_and_saveexec_b32 s2, vcc_lo
	s_cbranch_execnz .LBB0_18
.LBB0_16:
	s_endpgm
.LBB0_17:
	ds_load_b32 v2, v2 offset:4
	s_wait_dscnt 0x0
	v_add_nc_u32_e32 v1, v2, v1
	s_or_b32 exec_lo, exec_lo, s2
	global_wb scope:SCOPE_DEV
	s_wait_loadcnt 0x0
	s_wait_storecnt 0x0
	global_inv scope:SCOPE_DEV
	s_and_saveexec_b32 s2, vcc_lo
	s_cbranch_execz .LBB0_16
.LBB0_18:
	v_lshrrev_b32_e32 v0, 2, v0
	s_delay_alu instid0(VALU_DEP_1)
	v_and_b32_e32 v0, 0x3ffffffc, v0
	global_store_b32 v0, v1, s[0:1]
	s_endpgm
	.section	.rodata,"a",@progbits
	.p2align	6, 0x0
	.amdhsa_kernel _Z20vector_reduce_kernelILj16EEvPKjPjS2_
		.amdhsa_group_segment_fixed_size 8192
		.amdhsa_private_segment_fixed_size 0
		.amdhsa_kernarg_size 280
		.amdhsa_user_sgpr_count 2
		.amdhsa_user_sgpr_dispatch_ptr 0
		.amdhsa_user_sgpr_queue_ptr 0
		.amdhsa_user_sgpr_kernarg_segment_ptr 1
		.amdhsa_user_sgpr_dispatch_id 0
		.amdhsa_user_sgpr_kernarg_preload_length 0
		.amdhsa_user_sgpr_kernarg_preload_offset 0
		.amdhsa_user_sgpr_private_segment_size 0
		.amdhsa_wavefront_size32 1
		.amdhsa_uses_dynamic_stack 0
		.amdhsa_enable_private_segment 0
		.amdhsa_system_sgpr_workgroup_id_x 1
		.amdhsa_system_sgpr_workgroup_id_y 0
		.amdhsa_system_sgpr_workgroup_id_z 0
		.amdhsa_system_sgpr_workgroup_info 0
		.amdhsa_system_vgpr_workitem_id 2
		.amdhsa_next_free_vgpr 5
		.amdhsa_next_free_sgpr 9
		.amdhsa_named_barrier_count 0
		.amdhsa_reserve_vcc 1
		.amdhsa_float_round_mode_32 0
		.amdhsa_float_round_mode_16_64 0
		.amdhsa_float_denorm_mode_32 3
		.amdhsa_float_denorm_mode_16_64 3
		.amdhsa_fp16_overflow 0
		.amdhsa_memory_ordered 1
		.amdhsa_forward_progress 1
		.amdhsa_inst_pref_size 7
		.amdhsa_round_robin_scheduling 0
		.amdhsa_exception_fp_ieee_invalid_op 0
		.amdhsa_exception_fp_denorm_src 0
		.amdhsa_exception_fp_ieee_div_zero 0
		.amdhsa_exception_fp_ieee_overflow 0
		.amdhsa_exception_fp_ieee_underflow 0
		.amdhsa_exception_fp_ieee_inexact 0
		.amdhsa_exception_int_div_zero 0
	.end_amdhsa_kernel
	.section	.text._Z20vector_reduce_kernelILj16EEvPKjPjS2_,"axG",@progbits,_Z20vector_reduce_kernelILj16EEvPKjPjS2_,comdat
.Lfunc_end0:
	.size	_Z20vector_reduce_kernelILj16EEvPKjPjS2_, .Lfunc_end0-_Z20vector_reduce_kernelILj16EEvPKjPjS2_
                                        ; -- End function
	.set _Z20vector_reduce_kernelILj16EEvPKjPjS2_.num_vgpr, 5
	.set _Z20vector_reduce_kernelILj16EEvPKjPjS2_.num_agpr, 0
	.set _Z20vector_reduce_kernelILj16EEvPKjPjS2_.numbered_sgpr, 9
	.set _Z20vector_reduce_kernelILj16EEvPKjPjS2_.num_named_barrier, 0
	.set _Z20vector_reduce_kernelILj16EEvPKjPjS2_.private_seg_size, 0
	.set _Z20vector_reduce_kernelILj16EEvPKjPjS2_.uses_vcc, 1
	.set _Z20vector_reduce_kernelILj16EEvPKjPjS2_.uses_flat_scratch, 0
	.set _Z20vector_reduce_kernelILj16EEvPKjPjS2_.has_dyn_sized_stack, 0
	.set _Z20vector_reduce_kernelILj16EEvPKjPjS2_.has_recursion, 0
	.set _Z20vector_reduce_kernelILj16EEvPKjPjS2_.has_indirect_call, 0
	.section	.AMDGPU.csdata,"",@progbits
; Kernel info:
; codeLenInByte = 788
; TotalNumSgprs: 11
; NumVgprs: 5
; ScratchSize: 0
; MemoryBound: 0
; FloatMode: 240
; IeeeMode: 1
; LDSByteSize: 8192 bytes/workgroup (compile time only)
; SGPRBlocks: 0
; VGPRBlocks: 0
; NumSGPRsForWavesPerEU: 11
; NumVGPRsForWavesPerEU: 5
; NamedBarCnt: 0
; Occupancy: 16
; WaveLimiterHint : 0
; COMPUTE_PGM_RSRC2:SCRATCH_EN: 0
; COMPUTE_PGM_RSRC2:USER_SGPR: 2
; COMPUTE_PGM_RSRC2:TRAP_HANDLER: 0
; COMPUTE_PGM_RSRC2:TGID_X_EN: 1
; COMPUTE_PGM_RSRC2:TGID_Y_EN: 0
; COMPUTE_PGM_RSRC2:TGID_Z_EN: 0
; COMPUTE_PGM_RSRC2:TIDIG_COMP_CNT: 2
	.section	.AMDGPU.gpr_maximums,"",@progbits
	.set amdgpu.max_num_vgpr, 0
	.set amdgpu.max_num_agpr, 0
	.set amdgpu.max_num_sgpr, 0
	.section	.AMDGPU.csdata,"",@progbits
	.type	__hip_cuid_864de41779762a03,@object ; @__hip_cuid_864de41779762a03
	.section	.bss,"aw",@nobits
	.globl	__hip_cuid_864de41779762a03
__hip_cuid_864de41779762a03:
	.byte	0                               ; 0x0
	.size	__hip_cuid_864de41779762a03, 1

	.ident	"AMD clang version 22.0.0git (https://github.com/RadeonOpenCompute/llvm-project roc-7.2.4 26084 f58b06dce1f9c15707c5f808fd002e18c2accf7e)"
	.section	".note.GNU-stack","",@progbits
	.addrsig
	.addrsig_sym __hip_cuid_864de41779762a03
	.amdgpu_metadata
---
amdhsa.kernels:
  - .args:
      - .address_space:  global
        .offset:         0
        .size:           8
        .value_kind:     global_buffer
      - .address_space:  global
        .offset:         8
        .size:           8
        .value_kind:     global_buffer
      - .address_space:  global
        .offset:         16
        .size:           8
        .value_kind:     global_buffer
      - .offset:         24
        .size:           4
        .value_kind:     hidden_block_count_x
      - .offset:         28
        .size:           4
        .value_kind:     hidden_block_count_y
      - .offset:         32
        .size:           4
        .value_kind:     hidden_block_count_z
      - .offset:         36
        .size:           2
        .value_kind:     hidden_group_size_x
      - .offset:         38
        .size:           2
        .value_kind:     hidden_group_size_y
      - .offset:         40
        .size:           2
        .value_kind:     hidden_group_size_z
      - .offset:         42
        .size:           2
        .value_kind:     hidden_remainder_x
      - .offset:         44
        .size:           2
        .value_kind:     hidden_remainder_y
      - .offset:         46
        .size:           2
        .value_kind:     hidden_remainder_z
      - .offset:         64
        .size:           8
        .value_kind:     hidden_global_offset_x
      - .offset:         72
        .size:           8
        .value_kind:     hidden_global_offset_y
      - .offset:         80
        .size:           8
        .value_kind:     hidden_global_offset_z
      - .offset:         88
        .size:           2
        .value_kind:     hidden_grid_dims
    .group_segment_fixed_size: 8192
    .kernarg_segment_align: 8
    .kernarg_segment_size: 280
    .language:       OpenCL C
    .language_version:
      - 2
      - 0
    .max_flat_workgroup_size: 1024
    .name:           _Z20vector_reduce_kernelILj16EEvPKjPjS2_
    .private_segment_fixed_size: 0
    .sgpr_count:     11
    .sgpr_spill_count: 0
    .symbol:         _Z20vector_reduce_kernelILj16EEvPKjPjS2_.kd
    .uniform_work_group_size: 1
    .uses_dynamic_stack: false
    .vgpr_count:     5
    .vgpr_spill_count: 0
    .wavefront_size: 32
amdhsa.target:   amdgcn-amd-amdhsa--gfx1250
amdhsa.version:
  - 1
  - 2
...

	.end_amdgpu_metadata
